;; amdgpu-corpus repo=ROCm/rocFFT kind=compiled arch=gfx906 opt=O3
	.text
	.amdgcn_target "amdgcn-amd-amdhsa--gfx906"
	.amdhsa_code_object_version 6
	.protected	fft_rtc_fwd_len64_factors_4_4_2_2_wgs_64_tpt_4_dim2_dp_op_CI_CI_sbcc_twdbase8_2step_dirReg_intrinsicReadWrite ; -- Begin function fft_rtc_fwd_len64_factors_4_4_2_2_wgs_64_tpt_4_dim2_dp_op_CI_CI_sbcc_twdbase8_2step_dirReg_intrinsicReadWrite
	.globl	fft_rtc_fwd_len64_factors_4_4_2_2_wgs_64_tpt_4_dim2_dp_op_CI_CI_sbcc_twdbase8_2step_dirReg_intrinsicReadWrite
	.p2align	8
	.type	fft_rtc_fwd_len64_factors_4_4_2_2_wgs_64_tpt_4_dim2_dp_op_CI_CI_sbcc_twdbase8_2step_dirReg_intrinsicReadWrite,@function
fft_rtc_fwd_len64_factors_4_4_2_2_wgs_64_tpt_4_dim2_dp_op_CI_CI_sbcc_twdbase8_2step_dirReg_intrinsicReadWrite: ; @fft_rtc_fwd_len64_factors_4_4_2_2_wgs_64_tpt_4_dim2_dp_op_CI_CI_sbcc_twdbase8_2step_dirReg_intrinsicReadWrite
; %bb.0:
	s_load_dwordx4 s[0:3], s[4:5], 0x10
	s_load_dwordx2 s[24:25], s[4:5], 0x20
	s_mov_b32 s7, 0
	s_waitcnt lgkmcnt(0)
	s_load_dwordx2 s[22:23], s[0:1], 0x8
	s_load_dwordx2 s[18:19], s[4:5], 0x0
	s_load_dwordx4 s[8:11], s[4:5], 0x58
	s_load_dwordx2 s[20:21], s[2:3], 0x0
	s_load_dwordx2 s[16:17], s[24:25], 0x0
	s_waitcnt lgkmcnt(0)
	s_add_u32 s0, s22, -1
	s_addc_u32 s1, s23, -1
	s_lshr_b64 s[0:1], s[0:1], 4
	s_add_u32 s12, s0, 1
	s_addc_u32 s13, s1, 0
	v_mov_b32_e32 v1, s12
	v_mov_b32_e32 v2, s13
	v_cmp_lt_u64_e32 vcc, s[6:7], v[1:2]
	s_mov_b64 s[0:1], 0
	s_cbranch_vccnz .LBB0_2
; %bb.1:
	v_cvt_f32_u32_e32 v1, s12
	s_sub_i32 s0, 0, s12
	v_rcp_iflag_f32_e32 v1, v1
	v_mul_f32_e32 v1, 0x4f7ffffe, v1
	v_cvt_u32_f32_e32 v1, v1
	v_readfirstlane_b32 s1, v1
	s_mul_i32 s0, s0, s1
	s_mul_hi_u32 s0, s1, s0
	s_add_i32 s1, s1, s0
	s_mul_hi_u32 s0, s6, s1
	s_mul_i32 s7, s0, s12
	s_sub_i32 s7, s6, s7
	s_add_i32 s1, s0, 1
	s_sub_i32 s14, s7, s12
	s_cmp_ge_u32 s7, s12
	s_cselect_b32 s0, s1, s0
	s_cselect_b32 s7, s14, s7
	s_add_i32 s1, s0, 1
	s_cmp_ge_u32 s7, s12
	s_cselect_b32 s0, s1, s0
.LBB0_2:
	s_mul_i32 s1, s0, s13
	s_mul_hi_u32 s7, s0, s12
	s_add_i32 s7, s7, s1
	s_mul_i32 s1, s0, s12
	s_load_dwordx4 s[28:31], s[2:3], 0x8
	s_load_dwordx4 s[12:15], s[24:25], 0x8
	s_sub_u32 s2, s6, s1
	s_subb_u32 s3, 0, s7
	s_lshl_b64 s[2:3], s[2:3], 4
	s_waitcnt lgkmcnt(0)
	s_mul_i32 s1, s2, s28
	s_mul_i32 s6, s12, s2
	;; [unrolled: 1-line block ×4, first 2 shown]
	s_add_i32 s7, s7, s1
	s_add_i32 s6, s0, s6
	v_and_b32_e32 v60, 15, v0
	v_lshrrev_b32_e32 v63, 4, v0
	s_add_u32 s0, s2, 16
	v_mul_lo_u32 v33, s28, v60
	v_mul_lo_u32 v3, s20, v63
	v_mov_b32_e32 v1, s22
	v_or_b32_e32 v53, s2, v60
	v_mov_b32_e32 v54, s3
	s_addc_u32 s1, s3, 0
	v_mov_b32_e32 v2, s23
	v_cmp_le_u64_e32 vcc, s[0:1], v[1:2]
	v_cmp_gt_u64_e64 s[0:1], s[22:23], v[53:54]
	v_add_lshl_u32 v1, v33, v3, 4
	s_or_b64 vcc, vcc, s[0:1]
	v_or_b32_e32 v54, 16, v63
	v_cndmask_b32_e32 v9, -1, v1, vcc
	v_mul_lo_u32 v1, s20, v54
	v_or_b32_e32 v64, 32, v63
	v_mul_lo_u32 v11, s20, v64
	v_or_b32_e32 v55, 48, v63
	v_mul_lo_u32 v12, s20, v55
	s_lshl_b32 s7, s7, 4
	s_mov_b32 s3, 0x20000
	s_mov_b32 s2, -2
	s_mov_b32 s0, s8
	s_mov_b32 s1, s9
	v_add_lshl_u32 v1, v33, v1, 4
	v_cndmask_b32_e32 v10, -1, v1, vcc
	buffer_load_dwordx4 v[1:4], v9, s[0:3], s7 offen
	buffer_load_dwordx4 v[5:8], v10, s[0:3], s7 offen
	v_add_lshl_u32 v9, v33, v11, 4
	v_cndmask_b32_e32 v17, -1, v9, vcc
	v_add_lshl_u32 v9, v33, v12, 4
	v_cndmask_b32_e32 v18, -1, v9, vcc
	buffer_load_dwordx4 v[9:12], v17, s[0:3], s7 offen
	buffer_load_dwordx4 v[13:16], v18, s[0:3], s7 offen
	v_or_b32_e32 v65, 4, v63
	v_mul_lo_u32 v19, s20, v65
	v_or_b32_e32 v56, 20, v63
	v_mul_lo_u32 v20, s20, v56
	;; [unrolled: 2-line block ×4, first 2 shown]
	v_add_lshl_u32 v17, v33, v19, 4
	v_or_b32_e32 v67, 8, v63
	v_or_b32_e32 v58, 24, v63
	v_cndmask_b32_e32 v25, -1, v17, vcc
	v_add_lshl_u32 v17, v33, v20, 4
	v_mul_lo_u32 v36, s20, v67
	v_mul_lo_u32 v37, s20, v58
	v_cndmask_b32_e32 v26, -1, v17, vcc
	buffer_load_dwordx4 v[17:20], v25, s[0:3], s7 offen
	buffer_load_dwordx4 v[21:24], v26, s[0:3], s7 offen
	v_add_lshl_u32 v25, v33, v27, 4
	v_cndmask_b32_e32 v34, -1, v25, vcc
	v_add_lshl_u32 v25, v33, v28, 4
	v_cndmask_b32_e32 v35, -1, v25, vcc
	v_or_b32_e32 v68, 40, v63
	v_or_b32_e32 v59, 56, v63
	buffer_load_dwordx4 v[25:28], v34, s[0:3], s7 offen
	buffer_load_dwordx4 v[29:32], v35, s[0:3], s7 offen
	v_add_lshl_u32 v34, v33, v36, 4
	v_add_lshl_u32 v35, v33, v37, 4
	v_mul_lo_u32 v36, s20, v68
	v_mul_lo_u32 v37, s20, v59
	v_cndmask_b32_e32 v34, -1, v34, vcc
	v_cndmask_b32_e32 v35, -1, v35, vcc
	v_or_b32_e32 v69, 12, v63
	v_or_b32_e32 v61, 28, v63
	buffer_load_dwordx4 v[45:48], v34, s[0:3], s7 offen
	buffer_load_dwordx4 v[71:74], v35, s[0:3], s7 offen
	v_add_lshl_u32 v34, v33, v36, 4
	v_add_lshl_u32 v35, v33, v37, 4
	v_mul_lo_u32 v36, s20, v69
	v_mul_lo_u32 v37, s20, v61
	v_cndmask_b32_e32 v34, -1, v34, vcc
	;; [unrolled: 10-line block ×3, first 2 shown]
	v_cndmask_b32_e32 v35, -1, v35, vcc
	buffer_load_dwordx4 v[83:86], v34, s[0:3], s7 offen
	buffer_load_dwordx4 v[87:90], v35, s[0:3], s7 offen
	v_add_lshl_u32 v34, v33, v36, 4
	v_add_lshl_u32 v33, v33, v37, 4
	v_cndmask_b32_e32 v34, -1, v34, vcc
	v_cndmask_b32_e32 v33, -1, v33, vcc
	buffer_load_dwordx4 v[91:94], v34, s[0:3], s7 offen
	buffer_load_dwordx4 v[95:98], v33, s[0:3], s7 offen
	s_movk_i32 s0, 0xfd00
	v_and_b32_e32 v0, 48, v0
	v_and_b32_e32 v120, 15, v61
	s_waitcnt vmcnt(13)
	v_add_f64 v[9:10], v[1:2], -v[9:10]
	v_add_f64 v[11:12], v[3:4], -v[11:12]
	s_waitcnt vmcnt(12)
	v_add_f64 v[13:14], v[5:6], -v[13:14]
	v_add_f64 v[15:16], v[7:8], -v[15:16]
	v_fma_f64 v[1:2], v[1:2], 2.0, -v[9:10]
	v_fma_f64 v[3:4], v[3:4], 2.0, -v[11:12]
	;; [unrolled: 1-line block ×4, first 2 shown]
	v_add_f64 v[49:50], v[9:10], -v[15:16]
	v_add_f64 v[51:52], v[11:12], v[13:14]
	v_add_f64 v[99:100], v[1:2], -v[5:6]
	v_add_f64 v[101:102], v[3:4], -v[7:8]
	v_fma_f64 v[107:108], v[9:10], 2.0, -v[49:50]
	v_fma_f64 v[109:110], v[11:12], 2.0, -v[51:52]
	s_waitcnt vmcnt(9)
	v_add_f64 v[25:26], v[17:18], -v[25:26]
	v_add_f64 v[27:28], v[19:20], -v[27:28]
	s_waitcnt vmcnt(8)
	v_add_f64 v[29:30], v[21:22], -v[29:30]
	v_add_f64 v[31:32], v[23:24], -v[31:32]
	v_fma_f64 v[103:104], v[1:2], 2.0, -v[99:100]
	v_fma_f64 v[105:106], v[3:4], 2.0, -v[101:102]
	;; [unrolled: 1-line block ×6, first 2 shown]
	v_add_f64 v[33:34], v[25:26], -v[31:32]
	v_add_f64 v[35:36], v[27:28], v[29:30]
	s_waitcnt vmcnt(5)
	v_add_f64 v[9:10], v[45:46], -v[75:76]
	v_add_f64 v[11:12], v[47:48], -v[77:78]
	s_waitcnt vmcnt(4)
	v_add_f64 v[1:2], v[71:72], -v[79:80]
	v_add_f64 v[3:4], v[73:74], -v[81:82]
	;; [unrolled: 1-line block ×4, first 2 shown]
	v_fma_f64 v[29:30], v[45:46], 2.0, -v[9:10]
	v_fma_f64 v[31:32], v[47:48], 2.0, -v[11:12]
	;; [unrolled: 1-line block ×5, first 2 shown]
	s_waitcnt vmcnt(1)
	v_add_f64 v[75:76], v[83:84], -v[91:92]
	v_add_f64 v[77:78], v[85:86], -v[93:94]
	s_waitcnt vmcnt(0)
	v_add_f64 v[13:14], v[87:88], -v[95:96]
	v_add_f64 v[15:16], v[89:90], -v[97:98]
	v_fma_f64 v[43:44], v[19:20], 2.0, -v[39:40]
	v_add_f64 v[21:22], v[29:30], -v[5:6]
	v_add_f64 v[23:24], v[31:32], -v[7:8]
	;; [unrolled: 1-line block ×3, first 2 shown]
	v_fma_f64 v[71:72], v[83:84], 2.0, -v[75:76]
	v_fma_f64 v[73:74], v[85:86], 2.0, -v[77:78]
	;; [unrolled: 1-line block ×4, first 2 shown]
	v_add_f64 v[19:20], v[11:12], v[1:2]
	v_add_f64 v[1:2], v[75:76], -v[15:16]
	v_add_f64 v[3:4], v[77:78], v[13:14]
	v_fma_f64 v[45:46], v[25:26], 2.0, -v[33:34]
	v_fma_f64 v[47:48], v[27:28], 2.0, -v[35:36]
	;; [unrolled: 1-line block ×3, first 2 shown]
	v_add_f64 v[5:6], v[71:72], -v[79:80]
	v_add_f64 v[7:8], v[73:74], -v[81:82]
	v_fma_f64 v[31:32], v[31:32], 2.0, -v[23:24]
	v_fma_f64 v[25:26], v[9:10], 2.0, -v[17:18]
	;; [unrolled: 1-line block ×7, first 2 shown]
	v_lshlrev_b32_e32 v72, 10, v63
	v_lshlrev_b32_e32 v71, 4, v60
	v_add3_u32 v72, 0, v72, v71
	ds_write_b128 v72, v[103:106]
	ds_write_b128 v72, v[107:110] offset:256
	ds_write_b128 v72, v[99:102] offset:512
	ds_write_b128 v72, v[49:52] offset:768
	v_lshlrev_b32_e32 v49, 10, v65
	v_add3_u32 v49, 0, v49, v71
	ds_write_b128 v49, v[41:44]
	ds_write_b128 v49, v[45:48] offset:256
	ds_write_b128 v49, v[37:40] offset:512
	ds_write_b128 v49, v[33:36] offset:768
	;; [unrolled: 6-line block ×4, first 2 shown]
	v_mul_u32_u24_e32 v1, 3, v63
	v_lshlrev_b32_e32 v1, 4, v1
	s_waitcnt lgkmcnt(0)
	; wave barrier
	s_waitcnt lgkmcnt(0)
	global_load_dwordx4 v[6:9], v1, s[18:19]
	global_load_dwordx4 v[10:13], v1, s[18:19] offset:16
	global_load_dwordx4 v[17:20], v1, s[18:19] offset:32
	v_lshlrev_b32_e32 v2, 8, v54
	v_lshlrev_b32_e32 v1, 8, v63
	v_add3_u32 v30, 0, v2, v71
	v_lshlrev_b32_e32 v2, 8, v65
	v_add3_u32 v1, 0, v1, v71
	v_add3_u32 v4, 0, v2, v71
	ds_read_b128 v[21:24], v30
	ds_read_b128 v[25:28], v4
	;; [unrolled: 1-line block ×3, first 2 shown]
	ds_read_b128 v[35:38], v1 offset:5120
	ds_read_b128 v[39:42], v1 offset:8192
	;; [unrolled: 1-line block ×5, first 2 shown]
	v_lshlrev_b32_e32 v2, 8, v67
	v_add3_u32 v5, 0, v2, v71
	v_mad_i32_i24 v16, v69, s0, v29
	ds_read_b128 v[76:79], v5
	ds_read_b128 v[80:83], v16
	ds_read_b128 v[84:87], v1 offset:6144
	ds_read_b128 v[88:91], v1 offset:7168
	;; [unrolled: 1-line block ×6, first 2 shown]
	s_waitcnt lgkmcnt(0)
	; wave barrier
	s_waitcnt lgkmcnt(0)
	v_and_b32_e32 v29, 7, v56
	s_load_dwordx2 s[0:1], s[4:5], 0x8
	v_mul_lo_u32 v60, s12, v60
	s_lshl_b32 s4, s6, 4
	s_waitcnt vmcnt(2)
	v_mul_f64 v[2:3], v[23:24], v[8:9]
	v_mul_f64 v[14:15], v[21:22], v[8:9]
	s_waitcnt vmcnt(1)
	v_mul_f64 v[51:52], v[41:42], v[12:13]
	v_mul_f64 v[108:109], v[39:40], v[12:13]
	;; [unrolled: 3-line block ×3, first 2 shown]
	v_mul_f64 v[114:115], v[86:87], v[8:9]
	v_mul_f64 v[116:117], v[84:85], v[8:9]
	v_fma_f64 v[2:3], v[21:22], v[6:7], -v[2:3]
	v_fma_f64 v[14:15], v[23:24], v[6:7], v[14:15]
	v_fma_f64 v[21:22], v[39:40], v[10:11], -v[51:52]
	v_fma_f64 v[23:24], v[41:42], v[10:11], v[108:109]
	;; [unrolled: 2-line block ×3, first 2 shown]
	v_mul_f64 v[47:48], v[37:38], v[8:9]
	v_mul_f64 v[49:50], v[35:36], v[8:9]
	;; [unrolled: 1-line block ×6, first 2 shown]
	v_fma_f64 v[35:36], v[35:36], v[6:7], -v[47:48]
	v_fma_f64 v[37:38], v[37:38], v[6:7], v[49:50]
	v_fma_f64 v[43:44], v[43:44], v[10:11], -v[51:52]
	v_fma_f64 v[45:46], v[45:46], v[10:11], v[108:109]
	;; [unrolled: 2-line block ×3, first 2 shown]
	v_fma_f64 v[51:52], v[84:85], v[6:7], -v[114:115]
	v_mul_f64 v[74:75], v[94:95], v[12:13]
	v_mul_f64 v[84:85], v[92:93], v[12:13]
	;; [unrolled: 1-line block ×4, first 2 shown]
	v_fma_f64 v[72:73], v[86:87], v[6:7], v[116:117]
	v_mul_f64 v[86:87], v[102:103], v[19:20]
	v_mul_f64 v[110:111], v[90:91], v[8:9]
	;; [unrolled: 1-line block ×3, first 2 shown]
	v_fma_f64 v[74:75], v[92:93], v[10:11], -v[74:75]
	v_fma_f64 v[84:85], v[94:95], v[10:11], v[84:85]
	v_fma_f64 v[94:95], v[96:97], v[10:11], -v[112:113]
	v_fma_f64 v[96:97], v[98:99], v[10:11], v[12:13]
	v_add_f64 v[12:13], v[2:3], -v[39:40]
	v_add_f64 v[10:11], v[14:15], -v[41:42]
	;; [unrolled: 1-line block ×6, first 2 shown]
	v_mul_f64 v[108:109], v[100:101], v[19:20]
	v_fma_f64 v[86:87], v[100:101], v[17:18], -v[86:87]
	v_add_f64 v[98:99], v[31:32], -v[21:22]
	v_add_f64 v[100:101], v[33:34], -v[23:24]
	v_fma_f64 v[90:91], v[90:91], v[6:7], v[8:9]
	v_fma_f64 v[8:9], v[14:15], 2.0, -v[10:11]
	v_fma_f64 v[14:15], v[25:26], 2.0, -v[43:44]
	;; [unrolled: 1-line block ×8, first 2 shown]
	v_mul_f64 v[33:34], v[106:107], v[19:20]
	v_mul_f64 v[35:36], v[104:105], v[19:20]
	v_fma_f64 v[92:93], v[102:103], v[17:18], v[108:109]
	v_add_f64 v[19:20], v[14:15], -v[21:22]
	v_add_f64 v[21:22], v[27:28], -v[25:26]
	v_fma_f64 v[88:89], v[88:89], v[6:7], -v[110:111]
	v_add_f64 v[8:9], v[31:32], -v[8:9]
	v_add_f64 v[6:7], v[23:24], -v[2:3]
	;; [unrolled: 1-line block ×3, first 2 shown]
	v_add_f64 v[12:13], v[100:101], v[12:13]
	v_fma_f64 v[2:3], v[104:105], v[17:18], -v[33:34]
	v_fma_f64 v[17:18], v[106:107], v[17:18], v[35:36]
	v_fma_f64 v[35:36], v[14:15], 2.0, -v[19:20]
	v_fma_f64 v[37:38], v[27:28], 2.0, -v[21:22]
	v_add_f64 v[14:15], v[76:77], -v[74:75]
	v_add_f64 v[27:28], v[78:79], -v[84:85]
	;; [unrolled: 1-line block ×4, first 2 shown]
	v_fma_f64 v[25:26], v[31:32], 2.0, -v[8:9]
	v_fma_f64 v[31:32], v[98:99], 2.0, -v[10:11]
	;; [unrolled: 1-line block ×3, first 2 shown]
	v_add_f64 v[98:99], v[80:81], -v[94:95]
	v_add_f64 v[100:101], v[82:83], -v[96:97]
	;; [unrolled: 1-line block ×4, first 2 shown]
	v_fma_f64 v[86:87], v[76:77], 2.0, -v[14:15]
	v_fma_f64 v[92:93], v[78:79], 2.0, -v[27:28]
	;; [unrolled: 1-line block ×8, first 2 shown]
	v_add_f64 v[72:73], v[14:15], -v[84:85]
	v_add_f64 v[74:75], v[27:28], v[74:75]
	v_add_f64 v[47:48], v[86:87], -v[47:48]
	v_add_f64 v[49:50], v[92:93], -v[49:50]
	v_add_f64 v[39:40], v[43:44], -v[39:40]
	v_add_f64 v[41:42], v[45:46], v[41:42]
	v_add_f64 v[76:77], v[51:52], -v[76:77]
	v_add_f64 v[78:79], v[94:95], -v[78:79]
	;; [unrolled: 1-line block ×3, first 2 shown]
	v_add_f64 v[82:83], v[100:101], v[2:3]
	v_fma_f64 v[23:24], v[23:24], 2.0, -v[6:7]
	v_fma_f64 v[84:85], v[86:87], 2.0, -v[47:48]
	;; [unrolled: 1-line block ×11, first 2 shown]
	v_lshlrev_b32_e32 v2, 8, v64
	v_add3_u32 v3, 0, v2, v71
	ds_write_b128 v1, v[23:26]
	ds_write_b128 v1, v[31:34] offset:1024
	ds_write_b128 v1, v[6:9] offset:2048
	;; [unrolled: 1-line block ×7, first 2 shown]
	ds_write_b128 v3, v[84:87]
	ds_write_b128 v3, v[88:91] offset:1024
	ds_write_b128 v3, v[47:50] offset:2048
	;; [unrolled: 1-line block ×7, first 2 shown]
	s_waitcnt lgkmcnt(0)
	; wave barrier
	s_waitcnt lgkmcnt(0)
	global_load_dwordx4 v[8:11], v0, s[18:19] offset:192
	v_lshlrev_b32_e32 v25, 4, v29
	global_load_dwordx4 v[12:15], v25, s[18:19] offset:192
	v_and_b32_e32 v52, 11, v58
	v_lshlrev_b32_e32 v26, 4, v52
	v_lshlrev_b32_e32 v2, 4, v65
	global_load_dwordx4 v[17:20], v26, s[18:19] offset:192
	global_load_dwordx2 v[50:51], v2, s[18:19] offset:192
	v_lshlrev_b32_e32 v27, 4, v120
	global_load_dwordx4 v[21:24], v27, s[18:19] offset:192
	v_lshlrev_b32_e32 v6, 4, v67
	global_load_dwordx2 v[100:101], v6, s[18:19] offset:192
	v_lshlrev_b32_e32 v7, 4, v69
	global_load_dwordx2 v[102:103], v7, s[18:19] offset:192
	global_load_dwordx2 v[104:105], v25, s[18:19] offset:200
	;; [unrolled: 1-line block ×4, first 2 shown]
	ds_read_b128 v[25:28], v1
	ds_read_b128 v[32:35], v1 offset:8192
	ds_read_b128 v[36:39], v4
	ds_read_b128 v[40:43], v5
	ds_read_b128 v[44:47], v1 offset:9216
	ds_read_b128 v[72:75], v1 offset:10240
	;; [unrolled: 1-line block ×4, first 2 shown]
	v_lshlrev_b32_e32 v31, 8, v56
	v_add3_u32 v31, 0, v31, v71
	ds_read_b128 v[84:87], v16
	ds_read_b128 v[88:91], v31
	ds_read_b128 v[92:95], v1 offset:13312
	ds_read_b128 v[96:99], v1 offset:14336
	v_lshlrev_b32_e32 v48, 8, v58
	v_add3_u32 v48, 0, v48, v71
	v_lshlrev_b32_e32 v49, 8, v61
	v_add3_u32 v49, 0, v49, v71
	s_waitcnt vmcnt(9) lgkmcnt(10)
	v_mul_f64 v[110:111], v[34:35], v[10:11]
	v_mul_f64 v[112:113], v[32:33], v[10:11]
	s_waitcnt vmcnt(8) lgkmcnt(7)
	v_mul_f64 v[114:115], v[46:47], v[14:15]
	v_mul_f64 v[14:15], v[44:45], v[14:15]
	s_waitcnt lgkmcnt(4)
	v_mul_f64 v[116:117], v[82:83], v[10:11]
	v_mul_f64 v[10:11], v[80:81], v[10:11]
	v_fma_f64 v[110:111], v[32:33], v[8:9], -v[110:111]
	s_waitcnt vmcnt(7)
	v_mul_f64 v[32:33], v[74:75], v[19:20]
	v_mul_f64 v[19:20], v[72:73], v[19:20]
	s_waitcnt vmcnt(6)
	v_fma_f64 v[114:115], v[44:45], v[50:51], -v[114:115]
	v_fma_f64 v[50:51], v[46:47], v[50:51], v[14:15]
	s_waitcnt vmcnt(5)
	v_mul_f64 v[14:15], v[78:79], v[23:24]
	v_mul_f64 v[23:24], v[76:77], v[23:24]
	v_fma_f64 v[112:113], v[34:35], v[8:9], v[112:113]
	v_fma_f64 v[80:81], v[80:81], v[8:9], -v[116:117]
	s_waitcnt vmcnt(4)
	v_fma_f64 v[118:119], v[72:73], v[100:101], -v[32:33]
	ds_read_b128 v[32:35], v30
	ds_read_b128 v[44:47], v1 offset:15360
	v_fma_f64 v[100:101], v[74:75], v[100:101], v[19:20]
	s_waitcnt vmcnt(2) lgkmcnt(3)
	v_mul_f64 v[19:20], v[92:93], v[104:105]
	v_fma_f64 v[76:77], v[76:77], v[102:103], -v[14:15]
	v_fma_f64 v[78:79], v[78:79], v[102:103], v[23:24]
	v_mul_f64 v[14:15], v[94:95], v[104:105]
	s_waitcnt vmcnt(1) lgkmcnt(2)
	v_mul_f64 v[23:24], v[98:99], v[106:107]
	v_mul_f64 v[102:103], v[96:97], v[106:107]
	s_waitcnt vmcnt(0) lgkmcnt(0)
	v_mul_f64 v[104:105], v[46:47], v[108:109]
	v_mul_f64 v[106:107], v[44:45], v[108:109]
	v_fma_f64 v[82:83], v[82:83], v[8:9], v[10:11]
	v_fma_f64 v[94:95], v[94:95], v[12:13], v[19:20]
	ds_read_b128 v[8:11], v48
	ds_read_b128 v[72:75], v49
	v_fma_f64 v[92:93], v[92:93], v[12:13], -v[14:15]
	v_fma_f64 v[96:97], v[96:97], v[17:18], -v[23:24]
	v_fma_f64 v[98:99], v[98:99], v[17:18], v[102:103]
	v_fma_f64 v[102:103], v[44:45], v[21:22], -v[104:105]
	v_fma_f64 v[104:105], v[46:47], v[21:22], v[106:107]
	v_add_f64 v[44:45], v[84:85], -v[76:77]
	v_add_f64 v[46:47], v[86:87], -v[78:79]
	;; [unrolled: 1-line block ×8, first 2 shown]
	v_fma_f64 v[76:77], v[84:85], 2.0, -v[44:45]
	v_fma_f64 v[78:79], v[86:87], 2.0, -v[46:47]
	v_add_f64 v[80:81], v[32:33], -v[80:81]
	v_add_f64 v[82:83], v[34:35], -v[82:83]
	;; [unrolled: 1-line block ×4, first 2 shown]
	s_waitcnt lgkmcnt(1)
	v_add_f64 v[92:93], v[8:9], -v[96:97]
	v_add_f64 v[94:95], v[10:11], -v[98:99]
	v_fma_f64 v[25:26], v[25:26], 2.0, -v[12:13]
	v_fma_f64 v[27:28], v[27:28], 2.0, -v[14:15]
	s_waitcnt lgkmcnt(0)
	v_add_f64 v[96:97], v[72:73], -v[102:103]
	v_add_f64 v[98:99], v[74:75], -v[104:105]
	v_fma_f64 v[36:37], v[36:37], 2.0, -v[17:18]
	v_fma_f64 v[38:39], v[38:39], 2.0, -v[19:20]
	v_fma_f64 v[40:41], v[40:41], 2.0, -v[21:22]
	v_fma_f64 v[42:43], v[42:43], 2.0, -v[23:24]
	v_fma_f64 v[32:33], v[32:33], 2.0, -v[80:81]
	v_fma_f64 v[34:35], v[34:35], 2.0, -v[82:83]
	v_fma_f64 v[88:89], v[88:89], 2.0, -v[84:85]
	v_fma_f64 v[90:91], v[90:91], 2.0, -v[86:87]
	v_fma_f64 v[8:9], v[8:9], 2.0, -v[92:93]
	v_fma_f64 v[10:11], v[10:11], 2.0, -v[94:95]
	v_fma_f64 v[72:73], v[72:73], 2.0, -v[96:97]
	v_fma_f64 v[74:75], v[74:75], 2.0, -v[98:99]
	s_waitcnt lgkmcnt(0)
	; wave barrier
	ds_write_b128 v1, v[25:28]
	ds_write_b128 v1, v[12:15] offset:4096
	ds_write_b128 v4, v[36:39]
	ds_write_b128 v4, v[17:20] offset:4096
	;; [unrolled: 2-line block ×3, first 2 shown]
	v_lshlrev_b32_e32 v12, 8, v69
	v_add3_u32 v12, 0, v12, v71
	ds_write_b128 v12, v[76:79]
	ds_write_b128 v12, v[44:47] offset:4096
	ds_write_b128 v3, v[32:35]
	ds_write_b128 v3, v[80:83] offset:4096
	v_lshlrev_b32_e32 v3, 8, v29
	v_add3_u32 v3, 0, v3, v71
	ds_write_b128 v3, v[88:91] offset:8192
	ds_write_b128 v3, v[84:87] offset:12288
	v_lshlrev_b32_e32 v3, 8, v52
	v_add3_u32 v3, 0, v3, v71
	ds_write_b128 v3, v[8:11] offset:8192
	;; [unrolled: 4-line block ×3, first 2 shown]
	ds_write_b128 v3, v[96:99] offset:12288
	s_waitcnt lgkmcnt(0)
	; wave barrier
	s_waitcnt lgkmcnt(0)
	global_load_dwordx4 v[8:11], v0, s[18:19] offset:448
	global_load_dwordx4 v[12:15], v2, s[18:19] offset:448
	;; [unrolled: 1-line block ×4, first 2 shown]
	v_lshlrev_b32_e32 v0, 4, v54
	global_load_dwordx4 v[32:35], v0, s[18:19] offset:448
	v_lshlrev_b32_e32 v0, 4, v56
	global_load_dwordx4 v[36:39], v0, s[18:19] offset:448
	;; [unrolled: 2-line block ×4, first 2 shown]
	v_mul_lo_u32 v0, v53, v63
	v_mov_b32_e32 v51, 4
	v_mov_b32_e32 v50, 0x1000
	v_mul_lo_u32 v63, s16, v63
	v_lshlrev_b32_sdwa v2, v51, v0 dst_sel:DWORD dst_unused:UNUSED_PAD src0_sel:DWORD src1_sel:BYTE_0
	v_bfe_u32 v0, v0, 8, 8
	v_lshl_or_b32 v0, v0, 4, v50
	global_load_dwordx4 v[75:78], v2, s[0:1]
	global_load_dwordx4 v[79:82], v0, s[0:1]
	ds_read_b128 v[40:43], v1 offset:8192
	ds_read_b128 v[83:86], v1 offset:9216
	v_mul_lo_u32 v0, v53, v64
	ds_read_b128 v[87:90], v1 offset:10240
	ds_read_b128 v[91:94], v1 offset:11264
	;; [unrolled: 1-line block ×5, first 2 shown]
	s_waitcnt vmcnt(9) lgkmcnt(6)
	v_mul_f64 v[2:3], v[42:43], v[10:11]
	v_mul_f64 v[6:7], v[40:41], v[10:11]
	s_waitcnt vmcnt(8) lgkmcnt(5)
	v_mul_f64 v[10:11], v[85:86], v[14:15]
	s_waitcnt vmcnt(6) lgkmcnt(3)
	v_mul_f64 v[21:22], v[93:94], v[26:27]
	v_mul_f64 v[26:27], v[91:92], v[26:27]
	v_fma_f64 v[115:116], v[40:41], v[8:9], -v[2:3]
	v_mul_f64 v[2:3], v[83:84], v[14:15]
	v_fma_f64 v[117:118], v[83:84], v[12:13], -v[10:11]
	v_lshlrev_b32_sdwa v10, v51, v0 dst_sel:DWORD dst_unused:UNUSED_PAD src0_sel:DWORD src1_sel:BYTE_0
	v_bfe_u32 v0, v0, 8, 8
	v_fma_f64 v[14:15], v[42:43], v[8:9], v[6:7]
	v_lshl_or_b32 v0, v0, 4, v50
	global_load_dwordx4 v[6:9], v10, s[0:1]
	global_load_dwordx4 v[107:110], v0, s[0:1]
	v_mul_lo_u32 v0, v53, v65
	v_fma_f64 v[119:120], v[85:86], v[12:13], v[2:3]
	v_mul_f64 v[2:3], v[89:90], v[19:20]
	v_mul_f64 v[19:20], v[87:88], v[19:20]
	v_lshlrev_b32_sdwa v23, v51, v0 dst_sel:DWORD dst_unused:UNUSED_PAD src0_sel:DWORD src1_sel:BYTE_0
	v_bfe_u32 v0, v0, 8, 8
	v_lshl_or_b32 v0, v0, 4, v50
	global_load_dwordx4 v[10:13], v23, s[0:1]
	global_load_dwordx4 v[83:86], v0, s[0:1]
	v_mul_lo_u32 v0, v53, v66
	ds_read_b128 v[111:114], v1 offset:15360
	v_fma_f64 v[121:122], v[87:88], v[17:18], -v[2:3]
	v_fma_f64 v[17:18], v[89:90], v[17:18], v[19:20]
	v_lshlrev_b32_sdwa v19, v51, v0 dst_sel:DWORD dst_unused:UNUSED_PAD src0_sel:DWORD src1_sel:BYTE_0
	v_bfe_u32 v0, v0, 8, 8
	v_fma_f64 v[22:23], v[91:92], v[24:25], -v[21:22]
	v_fma_f64 v[28:29], v[93:94], v[24:25], v[26:27]
	v_lshl_or_b32 v0, v0, 4, v50
	global_load_dwordx4 v[24:27], v19, s[0:1]
	global_load_dwordx4 v[87:90], v0, s[0:1]
	s_waitcnt vmcnt(11) lgkmcnt(3)
	v_mul_f64 v[40:41], v[97:98], v[34:35]
	v_mul_f64 v[2:3], v[95:96], v[34:35]
	s_waitcnt vmcnt(10) lgkmcnt(2)
	v_mul_f64 v[34:35], v[101:102], v[38:39]
	v_mul_f64 v[38:39], v[99:100], v[38:39]
	;; [unrolled: 3-line block ×3, first 2 shown]
	v_mul_lo_u32 v19, v53, v67
	v_fma_f64 v[20:21], v[95:96], v[32:33], -v[40:41]
	v_fma_f64 v[123:124], v[97:98], v[32:33], v[2:3]
	s_waitcnt vmcnt(8) lgkmcnt(0)
	v_mul_f64 v[32:33], v[113:114], v[73:74]
	v_mul_f64 v[73:74], v[111:112], v[73:74]
	v_fma_f64 v[40:41], v[99:100], v[36:37], -v[34:35]
	v_fma_f64 v[42:43], v[101:102], v[36:37], v[38:39]
	v_fma_f64 v[36:37], v[103:104], v[44:45], -v[91:92]
	v_mul_lo_u32 v91, v53, v68
	v_lshlrev_b32_sdwa v52, v51, v19 dst_sel:DWORD dst_unused:UNUSED_PAD src0_sel:DWORD src1_sel:BYTE_0
	v_bfe_u32 v19, v19, 8, 8
	v_lshl_or_b32 v19, v19, 4, v50
	ds_read_b128 v[0:3], v1
	v_fma_f64 v[38:39], v[105:106], v[44:45], v[46:47]
	v_fma_f64 v[46:47], v[111:112], v[71:72], -v[32:33]
	v_fma_f64 v[44:45], v[113:114], v[71:72], v[73:74]
	global_load_dwordx4 v[32:35], v52, s[0:1]
	global_load_dwordx4 v[71:74], v19, s[0:1]
	v_lshlrev_b32_sdwa v19, v51, v91 dst_sel:DWORD dst_unused:UNUSED_PAD src0_sel:DWORD src1_sel:BYTE_0
	v_bfe_u32 v52, v91, 8, 8
	v_lshl_or_b32 v52, v52, 4, v50
	global_load_dwordx4 v[91:94], v19, s[0:1]
	global_load_dwordx4 v[95:98], v52, s[0:1]
	v_mul_lo_u32 v99, v53, v69
	s_waitcnt lgkmcnt(0)
	v_add_f64 v[111:112], v[0:1], -v[115:116]
	v_add_f64 v[14:15], v[2:3], -v[14:15]
	s_waitcnt vmcnt(10)
	v_mul_f64 v[113:114], v[75:76], v[81:82]
	v_lshlrev_b32_sdwa v19, v51, v99 dst_sel:DWORD dst_unused:UNUSED_PAD src0_sel:DWORD src1_sel:BYTE_0
	v_bfe_u32 v52, v99, 8, 8
	v_lshl_or_b32 v52, v52, 4, v50
	global_load_dwordx4 v[99:102], v19, s[0:1]
	global_load_dwordx4 v[103:106], v52, s[0:1]
	v_mul_f64 v[81:82], v[77:78], v[81:82]
	v_fma_f64 v[0:1], v[0:1], 2.0, -v[111:112]
	v_fma_f64 v[2:3], v[2:3], 2.0, -v[14:15]
	v_fma_f64 v[77:78], v[77:78], v[79:80], v[113:114]
	v_fma_f64 v[75:76], v[75:76], v[79:80], -v[81:82]
	v_mul_f64 v[79:80], v[2:3], v[77:78]
	v_mul_f64 v[77:78], v[0:1], v[77:78]
	v_fma_f64 v[0:1], v[0:1], v[75:76], -v[79:80]
	v_fma_f64 v[2:3], v[2:3], v[75:76], v[77:78]
	ds_read_b128 v[75:78], v4
	s_waitcnt vmcnt(10)
	v_mul_f64 v[81:82], v[6:7], v[109:110]
	v_mul_f64 v[109:110], v[8:9], v[109:110]
	v_fma_f64 v[8:9], v[8:9], v[107:108], v[81:82]
	ds_read_b128 v[79:82], v5
	s_waitcnt vmcnt(8)
	v_mul_f64 v[4:5], v[10:11], v[85:86]
	v_fma_f64 v[6:7], v[6:7], v[107:108], -v[109:110]
	s_waitcnt lgkmcnt(1)
	v_add_f64 v[113:114], v[77:78], -v[119:120]
	v_add_f64 v[115:116], v[75:76], -v[117:118]
	v_mul_f64 v[85:86], v[12:13], v[85:86]
	s_waitcnt lgkmcnt(0)
	v_add_f64 v[18:19], v[81:82], -v[17:18]
	v_mul_f64 v[107:108], v[14:15], v[8:9]
	v_mul_f64 v[8:9], v[111:112], v[8:9]
	v_mul_lo_u32 v17, v53, v70
	v_fma_f64 v[12:13], v[12:13], v[83:84], v[4:5]
	v_fma_f64 v[109:110], v[77:78], 2.0, -v[113:114]
	v_fma_f64 v[117:118], v[75:76], 2.0, -v[115:116]
	v_lshlrev_b32_sdwa v52, v51, v17 dst_sel:DWORD dst_unused:UNUSED_PAD src0_sel:DWORD src1_sel:BYTE_0
	v_bfe_u32 v17, v17, 8, 8
	v_fma_f64 v[4:5], v[111:112], v[6:7], -v[107:108]
	v_fma_f64 v[6:7], v[14:15], v[6:7], v[8:9]
	s_waitcnt vmcnt(6)
	v_mul_f64 v[14:15], v[24:25], v[89:90]
	v_fma_f64 v[10:11], v[10:11], v[83:84], -v[85:86]
	v_lshl_or_b32 v17, v17, 4, v50
	global_load_dwordx4 v[75:78], v52, s[0:1]
	global_load_dwordx4 v[83:86], v17, s[0:1]
	v_mul_f64 v[89:90], v[26:27], v[89:90]
	v_add_f64 v[119:120], v[79:80], -v[121:122]
	v_mul_lo_u32 v17, v53, v54
	v_mul_f64 v[8:9], v[109:110], v[12:13]
	v_fma_f64 v[14:15], v[26:27], v[87:88], v[14:15]
	v_mul_f64 v[12:13], v[117:118], v[12:13]
	v_lshlrev_b32_sdwa v52, v51, v17 dst_sel:DWORD dst_unused:UNUSED_PAD src0_sel:DWORD src1_sel:BYTE_0
	v_bfe_u32 v17, v17, 8, 8
	v_fma_f64 v[24:25], v[24:25], v[87:88], -v[89:90]
	v_fma_f64 v[26:27], v[79:80], 2.0, -v[119:120]
	v_fma_f64 v[111:112], v[81:82], 2.0, -v[18:19]
	v_lshl_or_b32 v17, v17, 4, v50
	v_mul_f64 v[107:108], v[113:114], v[14:15]
	v_mul_f64 v[14:15], v[115:116], v[14:15]
	global_load_dwordx4 v[79:82], v52, s[0:1]
	global_load_dwordx4 v[87:90], v17, s[0:1]
	v_fma_f64 v[8:9], v[117:118], v[10:11], -v[8:9]
	s_waitcnt vmcnt(8)
	v_mul_f64 v[117:118], v[32:33], v[73:74]
	v_fma_f64 v[10:11], v[109:110], v[10:11], v[12:13]
	v_mul_f64 v[73:74], v[34:35], v[73:74]
	v_mul_lo_u32 v17, v53, v55
	v_fma_f64 v[12:13], v[115:116], v[24:25], -v[107:108]
	v_fma_f64 v[14:15], v[113:114], v[24:25], v[14:15]
	s_waitcnt vmcnt(6)
	v_mul_f64 v[24:25], v[91:92], v[97:98]
	v_mul_f64 v[107:108], v[93:94], v[97:98]
	v_fma_f64 v[34:35], v[34:35], v[71:72], v[117:118]
	s_waitcnt vmcnt(4)
	v_mul_f64 v[97:98], v[101:102], v[105:106]
	v_mul_f64 v[105:106], v[99:100], v[105:106]
	v_fma_f64 v[32:33], v[32:33], v[71:72], -v[73:74]
	v_mul_lo_u32 v52, v53, v58
	v_fma_f64 v[117:118], v[93:94], v[95:96], v[24:25]
	v_mul_lo_u32 v25, v53, v56
	v_lshlrev_b32_sdwa v24, v51, v17 dst_sel:DWORD dst_unused:UNUSED_PAD src0_sel:DWORD src1_sel:BYTE_0
	v_bfe_u32 v17, v17, 8, 8
	v_lshl_or_b32 v17, v17, 4, v50
	v_fma_f64 v[115:116], v[91:92], v[95:96], -v[107:108]
	global_load_dwordx4 v[71:74], v24, s[0:1]
	global_load_dwordx4 v[91:94], v17, s[0:1]
	v_lshlrev_b32_sdwa v17, v51, v25 dst_sel:DWORD dst_unused:UNUSED_PAD src0_sel:DWORD src1_sel:BYTE_0
	v_bfe_u32 v24, v25, 8, 8
	v_mul_lo_u32 v25, v53, v57
	v_lshl_or_b32 v24, v24, 4, v50
	v_fma_f64 v[121:122], v[99:100], v[103:104], -v[97:98]
	v_fma_f64 v[125:126], v[101:102], v[103:104], v[105:106]
	global_load_dwordx4 v[95:98], v17, s[0:1]
	global_load_dwordx4 v[99:102], v24, s[0:1]
	v_lshlrev_b32_sdwa v17, v51, v25 dst_sel:DWORD dst_unused:UNUSED_PAD src0_sel:DWORD src1_sel:BYTE_0
	v_bfe_u32 v24, v25, 8, 8
	v_lshl_or_b32 v24, v24, 4, v50
	global_load_dwordx4 v[103:106], v17, s[0:1]
	global_load_dwordx4 v[107:110], v24, s[0:1]
	v_mul_f64 v[113:114], v[111:112], v[34:35]
	v_mul_f64 v[34:35], v[26:27], v[34:35]
	v_fma_f64 v[24:25], v[26:27], v[32:33], -v[113:114]
	v_fma_f64 v[26:27], v[111:112], v[32:33], v[34:35]
	v_mul_f64 v[111:112], v[18:19], v[117:118]
	v_mul_f64 v[113:114], v[119:120], v[117:118]
	ds_read_b128 v[32:35], v16
	s_waitcnt lgkmcnt(0)
	v_add_f64 v[117:118], v[34:35], -v[28:29]
	v_fma_f64 v[16:17], v[119:120], v[115:116], -v[111:112]
	v_fma_f64 v[18:19], v[18:19], v[115:116], v[113:114]
	v_add_f64 v[115:116], v[32:33], -v[22:23]
	ds_read_b128 v[111:114], v31
	v_fma_f64 v[22:23], v[32:33], 2.0, -v[115:116]
	v_fma_f64 v[32:33], v[34:35], 2.0, -v[117:118]
	s_waitcnt vmcnt(8)
	v_mul_f64 v[28:29], v[77:78], v[85:86]
	v_mul_f64 v[34:35], v[75:76], v[85:86]
	v_fma_f64 v[85:86], v[75:76], v[83:84], -v[28:29]
	v_fma_f64 v[34:35], v[77:78], v[83:84], v[34:35]
	v_mul_f64 v[75:76], v[32:33], v[125:126]
	v_mul_f64 v[77:78], v[22:23], v[125:126]
	ds_read_b128 v[28:31], v30
	s_waitcnt vmcnt(6)
	v_mul_f64 v[83:84], v[79:80], v[89:90]
	s_waitcnt lgkmcnt(0)
	v_add_f64 v[119:120], v[30:31], -v[123:124]
	v_add_f64 v[123:124], v[28:29], -v[20:21]
	v_fma_f64 v[20:21], v[22:23], v[121:122], -v[75:76]
	v_fma_f64 v[22:23], v[32:33], v[121:122], v[77:78]
	v_mul_f64 v[32:33], v[81:82], v[89:90]
	v_mul_f64 v[89:90], v[117:118], v[34:35]
	v_fma_f64 v[83:84], v[81:82], v[87:88], v[83:84]
	v_mul_f64 v[34:35], v[115:116], v[34:35]
	v_fma_f64 v[30:31], v[30:31], 2.0, -v[119:120]
	v_fma_f64 v[28:29], v[28:29], 2.0, -v[123:124]
	v_fma_f64 v[87:88], v[79:80], v[87:88], -v[32:33]
	v_lshlrev_b32_sdwa v32, v51, v52 dst_sel:DWORD dst_unused:UNUSED_PAD src0_sel:DWORD src1_sel:BYTE_0
	v_bfe_u32 v33, v52, 8, 8
	v_lshl_or_b32 v33, v33, 4, v50
	global_load_dwordx4 v[75:78], v32, s[0:1]
	global_load_dwordx4 v[79:82], v33, s[0:1]
	v_mul_f64 v[121:122], v[30:31], v[83:84]
	v_mul_f64 v[83:84], v[28:29], v[83:84]
	v_fma_f64 v[32:33], v[115:116], v[85:86], -v[89:90]
	v_fma_f64 v[34:35], v[117:118], v[85:86], v[34:35]
	s_waitcnt vmcnt(6)
	v_mul_f64 v[85:86], v[73:74], v[93:94]
	v_mul_f64 v[89:90], v[71:72], v[93:94]
	v_mul_lo_u32 v52, v53, v59
	v_fma_f64 v[28:29], v[28:29], v[87:88], -v[121:122]
	v_fma_f64 v[30:31], v[30:31], v[87:88], v[83:84]
	s_waitcnt vmcnt(4)
	v_mul_f64 v[93:94], v[97:98], v[101:102]
	v_mul_f64 v[83:84], v[95:96], v[101:102]
	v_fma_f64 v[115:116], v[73:74], v[91:92], v[89:90]
	s_waitcnt vmcnt(2)
	v_mul_f64 v[87:88], v[105:106], v[109:110]
	v_mul_f64 v[101:102], v[103:104], v[109:110]
	v_fma_f64 v[109:110], v[71:72], v[91:92], -v[85:86]
	v_fma_f64 v[117:118], v[95:96], v[99:100], -v[93:94]
	v_fma_f64 v[99:100], v[97:98], v[99:100], v[83:84]
	v_mul_f64 v[121:122], v[119:120], v[115:116]
	v_fma_f64 v[103:104], v[103:104], v[107:108], -v[87:88]
	v_mul_lo_u32 v88, v53, v61
	v_mul_lo_u32 v53, v53, v62
	v_lshlrev_b32_sdwa v87, v51, v52 dst_sel:DWORD dst_unused:UNUSED_PAD src0_sel:DWORD src1_sel:BYTE_0
	v_bfe_u32 v52, v52, 8, 8
	v_lshl_or_b32 v52, v52, 4, v50
	global_load_dwordx4 v[71:74], v87, s[0:1]
	global_load_dwordx4 v[83:86], v52, s[0:1]
	v_bfe_u32 v87, v88, 8, 8
	v_fma_f64 v[101:102], v[105:106], v[107:108], v[101:102]
	v_lshlrev_b32_sdwa v52, v51, v88 dst_sel:DWORD dst_unused:UNUSED_PAD src0_sel:DWORD src1_sel:BYTE_0
	v_lshl_or_b32 v95, v87, 4, v50
	v_lshlrev_b32_sdwa v105, v51, v53 dst_sel:DWORD dst_unused:UNUSED_PAD src0_sel:DWORD src1_sel:BYTE_0
	v_bfe_u32 v51, v53, 8, 8
	global_load_dwordx4 v[87:90], v52, s[0:1]
	global_load_dwordx4 v[91:94], v95, s[0:1]
	v_lshl_or_b32 v106, v51, 4, v50
	global_load_dwordx4 v[50:53], v105, s[0:1]
	global_load_dwordx4 v[95:98], v106, s[0:1]
	v_add_f64 v[107:108], v[113:114], -v[42:43]
	v_add_f64 v[105:106], v[111:112], -v[40:41]
	v_mul_f64 v[115:116], v[123:124], v[115:116]
	s_mov_b32 s0, s10
	s_mov_b32 s1, s11
	v_fma_f64 v[113:114], v[113:114], 2.0, -v[107:108]
	v_fma_f64 v[111:112], v[111:112], 2.0, -v[105:106]
	s_waitcnt vmcnt(6)
	v_mul_f64 v[40:41], v[77:78], v[81:82]
	v_mul_f64 v[42:43], v[75:76], v[81:82]
	v_fma_f64 v[81:82], v[75:76], v[79:80], -v[40:41]
	v_fma_f64 v[79:80], v[77:78], v[79:80], v[42:43]
	ds_read_b128 v[40:43], v48
	ds_read_b128 v[75:78], v49
	s_waitcnt lgkmcnt(1)
	v_add_f64 v[48:49], v[40:41], -v[36:37]
	s_waitcnt lgkmcnt(0)
	v_add_f64 v[127:128], v[75:76], -v[46:47]
	v_mul_f64 v[46:47], v[113:114], v[99:100]
	v_add_f64 v[125:126], v[42:43], -v[38:39]
	v_fma_f64 v[36:37], v[123:124], v[109:110], -v[121:122]
	v_fma_f64 v[38:39], v[119:120], v[109:110], v[115:116]
	v_add_f64 v[119:120], v[77:78], -v[44:45]
	v_mul_f64 v[44:45], v[107:108], v[101:102]
	v_fma_f64 v[109:110], v[40:41], 2.0, -v[48:49]
	v_mul_f64 v[99:100], v[111:112], v[99:100]
	v_fma_f64 v[40:41], v[111:112], v[117:118], -v[46:47]
	v_mul_f64 v[46:47], v[105:106], v[101:102]
	v_fma_f64 v[115:116], v[42:43], 2.0, -v[125:126]
	v_fma_f64 v[121:122], v[75:76], 2.0, -v[127:128]
	s_waitcnt vmcnt(4)
	v_mul_f64 v[75:76], v[71:72], v[85:86]
	v_fma_f64 v[44:45], v[105:106], v[103:104], -v[44:45]
	v_mul_f64 v[85:86], v[73:74], v[85:86]
	v_fma_f64 v[42:43], v[113:114], v[117:118], v[99:100]
	v_fma_f64 v[101:102], v[77:78], 2.0, -v[119:120]
	v_fma_f64 v[46:47], v[107:108], v[103:104], v[46:47]
	v_mul_f64 v[99:100], v[115:116], v[79:80]
	s_waitcnt vmcnt(2)
	v_mul_f64 v[77:78], v[87:88], v[93:94]
	v_fma_f64 v[75:76], v[73:74], v[83:84], v[75:76]
	s_waitcnt vmcnt(0)
	v_mul_f64 v[103:104], v[50:51], v[97:98]
	v_mul_f64 v[79:80], v[109:110], v[79:80]
	v_fma_f64 v[71:72], v[71:72], v[83:84], -v[85:86]
	v_mul_f64 v[83:84], v[52:53], v[97:98]
	v_mul_f64 v[93:94], v[89:90], v[93:94]
	v_fma_f64 v[73:74], v[109:110], v[81:82], -v[99:100]
	v_fma_f64 v[77:78], v[89:90], v[91:92], v[77:78]
	v_mul_f64 v[85:86], v[125:126], v[75:76]
	v_fma_f64 v[52:53], v[52:53], v[95:96], v[103:104]
	v_mul_f64 v[89:90], v[48:49], v[75:76]
	v_fma_f64 v[75:76], v[115:116], v[81:82], v[79:80]
	v_fma_f64 v[83:84], v[50:51], v[95:96], -v[83:84]
	v_fma_f64 v[87:88], v[87:88], v[91:92], -v[93:94]
	v_mul_f64 v[91:92], v[101:102], v[77:78]
	v_mul_f64 v[79:80], v[121:122], v[77:78]
	;; [unrolled: 1-line block ×4, first 2 shown]
	v_fma_f64 v[48:49], v[48:49], v[71:72], -v[85:86]
	v_fma_f64 v[50:51], v[125:126], v[71:72], v[89:90]
	v_fma_f64 v[77:78], v[121:122], v[87:88], -v[91:92]
	v_fma_f64 v[79:80], v[101:102], v[87:88], v[79:80]
	;; [unrolled: 2-line block ×3, first 2 shown]
	v_mul_lo_u32 v53, s16, v64
	v_add_lshl_u32 v52, v60, v63, 4
	v_cndmask_b32_e32 v52, -1, v52, vcc
	buffer_store_dwordx4 v[0:3], v52, s[0:3], s4 offen
	v_add_lshl_u32 v0, v60, v53, 4
	v_cndmask_b32_e32 v0, -1, v0, vcc
	v_mul_lo_u32 v1, s16, v65
	buffer_store_dwordx4 v[4:7], v0, s[0:3], s4 offen
	v_mul_lo_u32 v0, s16, v66
	v_add_lshl_u32 v1, v60, v1, 4
	v_cndmask_b32_e32 v1, -1, v1, vcc
	v_add_lshl_u32 v0, v60, v0, 4
	v_cndmask_b32_e32 v0, -1, v0, vcc
	buffer_store_dwordx4 v[8:11], v1, s[0:3], s4 offen
	v_mul_lo_u32 v1, s16, v67
	buffer_store_dwordx4 v[12:15], v0, s[0:3], s4 offen
	v_mul_lo_u32 v0, s16, v68
	v_add_lshl_u32 v1, v60, v1, 4
	v_cndmask_b32_e32 v1, -1, v1, vcc
	v_add_lshl_u32 v0, v60, v0, 4
	v_cndmask_b32_e32 v0, -1, v0, vcc
	buffer_store_dwordx4 v[24:27], v1, s[0:3], s4 offen
	;; [unrolled: 8-line block ×7, first 2 shown]
	buffer_store_dwordx4 v[81:84], v0, s[0:3], s4 offen
	s_endpgm
	.section	.rodata,"a",@progbits
	.p2align	6, 0x0
	.amdhsa_kernel fft_rtc_fwd_len64_factors_4_4_2_2_wgs_64_tpt_4_dim2_dp_op_CI_CI_sbcc_twdbase8_2step_dirReg_intrinsicReadWrite
		.amdhsa_group_segment_fixed_size 0
		.amdhsa_private_segment_fixed_size 0
		.amdhsa_kernarg_size 104
		.amdhsa_user_sgpr_count 6
		.amdhsa_user_sgpr_private_segment_buffer 1
		.amdhsa_user_sgpr_dispatch_ptr 0
		.amdhsa_user_sgpr_queue_ptr 0
		.amdhsa_user_sgpr_kernarg_segment_ptr 1
		.amdhsa_user_sgpr_dispatch_id 0
		.amdhsa_user_sgpr_flat_scratch_init 0
		.amdhsa_user_sgpr_private_segment_size 0
		.amdhsa_uses_dynamic_stack 0
		.amdhsa_system_sgpr_private_segment_wavefront_offset 0
		.amdhsa_system_sgpr_workgroup_id_x 1
		.amdhsa_system_sgpr_workgroup_id_y 0
		.amdhsa_system_sgpr_workgroup_id_z 0
		.amdhsa_system_sgpr_workgroup_info 0
		.amdhsa_system_vgpr_workitem_id 0
		.amdhsa_next_free_vgpr 129
		.amdhsa_next_free_sgpr 32
		.amdhsa_reserve_vcc 1
		.amdhsa_reserve_flat_scratch 0
		.amdhsa_float_round_mode_32 0
		.amdhsa_float_round_mode_16_64 0
		.amdhsa_float_denorm_mode_32 3
		.amdhsa_float_denorm_mode_16_64 3
		.amdhsa_dx10_clamp 1
		.amdhsa_ieee_mode 1
		.amdhsa_fp16_overflow 0
		.amdhsa_exception_fp_ieee_invalid_op 0
		.amdhsa_exception_fp_denorm_src 0
		.amdhsa_exception_fp_ieee_div_zero 0
		.amdhsa_exception_fp_ieee_overflow 0
		.amdhsa_exception_fp_ieee_underflow 0
		.amdhsa_exception_fp_ieee_inexact 0
		.amdhsa_exception_int_div_zero 0
	.end_amdhsa_kernel
	.text
.Lfunc_end0:
	.size	fft_rtc_fwd_len64_factors_4_4_2_2_wgs_64_tpt_4_dim2_dp_op_CI_CI_sbcc_twdbase8_2step_dirReg_intrinsicReadWrite, .Lfunc_end0-fft_rtc_fwd_len64_factors_4_4_2_2_wgs_64_tpt_4_dim2_dp_op_CI_CI_sbcc_twdbase8_2step_dirReg_intrinsicReadWrite
                                        ; -- End function
	.section	.AMDGPU.csdata,"",@progbits
; Kernel info:
; codeLenInByte = 7024
; NumSgprs: 36
; NumVgprs: 129
; ScratchSize: 0
; MemoryBound: 0
; FloatMode: 240
; IeeeMode: 1
; LDSByteSize: 0 bytes/workgroup (compile time only)
; SGPRBlocks: 4
; VGPRBlocks: 32
; NumSGPRsForWavesPerEU: 36
; NumVGPRsForWavesPerEU: 129
; Occupancy: 1
; WaveLimiterHint : 0
; COMPUTE_PGM_RSRC2:SCRATCH_EN: 0
; COMPUTE_PGM_RSRC2:USER_SGPR: 6
; COMPUTE_PGM_RSRC2:TRAP_HANDLER: 0
; COMPUTE_PGM_RSRC2:TGID_X_EN: 1
; COMPUTE_PGM_RSRC2:TGID_Y_EN: 0
; COMPUTE_PGM_RSRC2:TGID_Z_EN: 0
; COMPUTE_PGM_RSRC2:TIDIG_COMP_CNT: 0
	.type	__hip_cuid_8601419b373cce0e,@object ; @__hip_cuid_8601419b373cce0e
	.section	.bss,"aw",@nobits
	.globl	__hip_cuid_8601419b373cce0e
__hip_cuid_8601419b373cce0e:
	.byte	0                               ; 0x0
	.size	__hip_cuid_8601419b373cce0e, 1

	.ident	"AMD clang version 19.0.0git (https://github.com/RadeonOpenCompute/llvm-project roc-6.4.0 25133 c7fe45cf4b819c5991fe208aaa96edf142730f1d)"
	.section	".note.GNU-stack","",@progbits
	.addrsig
	.addrsig_sym __hip_cuid_8601419b373cce0e
	.amdgpu_metadata
---
amdhsa.kernels:
  - .args:
      - .actual_access:  read_only
        .address_space:  global
        .offset:         0
        .size:           8
        .value_kind:     global_buffer
      - .address_space:  global
        .offset:         8
        .size:           8
        .value_kind:     global_buffer
      - .actual_access:  read_only
        .address_space:  global
        .offset:         16
        .size:           8
        .value_kind:     global_buffer
      - .actual_access:  read_only
        .address_space:  global
        .offset:         24
        .size:           8
        .value_kind:     global_buffer
      - .actual_access:  read_only
        .address_space:  global
        .offset:         32
        .size:           8
        .value_kind:     global_buffer
      - .offset:         40
        .size:           8
        .value_kind:     by_value
      - .actual_access:  read_only
        .address_space:  global
        .offset:         48
        .size:           8
        .value_kind:     global_buffer
      - .actual_access:  read_only
        .address_space:  global
        .offset:         56
        .size:           8
        .value_kind:     global_buffer
      - .offset:         64
        .size:           4
        .value_kind:     by_value
      - .actual_access:  read_only
        .address_space:  global
        .offset:         72
        .size:           8
        .value_kind:     global_buffer
      - .actual_access:  read_only
        .address_space:  global
        .offset:         80
        .size:           8
        .value_kind:     global_buffer
      - .address_space:  global
        .offset:         88
        .size:           8
        .value_kind:     global_buffer
      - .address_space:  global
        .offset:         96
        .size:           8
        .value_kind:     global_buffer
    .group_segment_fixed_size: 0
    .kernarg_segment_align: 8
    .kernarg_segment_size: 104
    .language:       OpenCL C
    .language_version:
      - 2
      - 0
    .max_flat_workgroup_size: 64
    .name:           fft_rtc_fwd_len64_factors_4_4_2_2_wgs_64_tpt_4_dim2_dp_op_CI_CI_sbcc_twdbase8_2step_dirReg_intrinsicReadWrite
    .private_segment_fixed_size: 0
    .sgpr_count:     36
    .sgpr_spill_count: 0
    .symbol:         fft_rtc_fwd_len64_factors_4_4_2_2_wgs_64_tpt_4_dim2_dp_op_CI_CI_sbcc_twdbase8_2step_dirReg_intrinsicReadWrite.kd
    .uniform_work_group_size: 1
    .uses_dynamic_stack: false
    .vgpr_count:     129
    .vgpr_spill_count: 0
    .wavefront_size: 64
amdhsa.target:   amdgcn-amd-amdhsa--gfx906
amdhsa.version:
  - 1
  - 2
...

	.end_amdgpu_metadata
